;; amdgpu-corpus repo=ROCm/rocFFT kind=compiled arch=gfx906 opt=O3
	.text
	.amdgcn_target "amdgcn-amd-amdhsa--gfx906"
	.amdhsa_code_object_version 6
	.protected	fft_rtc_fwd_len1350_factors_5_10_3_3_3_wgs_135_tpt_135_halfLds_half_op_CI_CI_unitstride_sbrr_R2C_dirReg ; -- Begin function fft_rtc_fwd_len1350_factors_5_10_3_3_3_wgs_135_tpt_135_halfLds_half_op_CI_CI_unitstride_sbrr_R2C_dirReg
	.globl	fft_rtc_fwd_len1350_factors_5_10_3_3_3_wgs_135_tpt_135_halfLds_half_op_CI_CI_unitstride_sbrr_R2C_dirReg
	.p2align	8
	.type	fft_rtc_fwd_len1350_factors_5_10_3_3_3_wgs_135_tpt_135_halfLds_half_op_CI_CI_unitstride_sbrr_R2C_dirReg,@function
fft_rtc_fwd_len1350_factors_5_10_3_3_3_wgs_135_tpt_135_halfLds_half_op_CI_CI_unitstride_sbrr_R2C_dirReg: ; @fft_rtc_fwd_len1350_factors_5_10_3_3_3_wgs_135_tpt_135_halfLds_half_op_CI_CI_unitstride_sbrr_R2C_dirReg
; %bb.0:
	s_load_dwordx4 s[8:11], s[4:5], 0x58
	s_load_dwordx4 s[12:15], s[4:5], 0x0
	;; [unrolled: 1-line block ×3, first 2 shown]
	v_mul_u32_u24_e32 v1, 0x1e6, v0
	v_mov_b32_e32 v5, 0
	v_mov_b32_e32 v11, 0
	s_waitcnt lgkmcnt(0)
	v_cmp_lt_u64_e64 s[0:1], s[14:15], 2
	v_add_u32_sdwa v7, s6, v1 dst_sel:DWORD dst_unused:UNUSED_PAD src0_sel:DWORD src1_sel:WORD_1
	v_mov_b32_e32 v8, v5
	s_and_b64 vcc, exec, s[0:1]
	v_mov_b32_e32 v12, 0
	s_cbranch_vccnz .LBB0_8
; %bb.1:
	s_load_dwordx2 s[0:1], s[4:5], 0x10
	s_add_u32 s2, s18, 8
	s_addc_u32 s3, s19, 0
	s_add_u32 s6, s16, 8
	s_addc_u32 s7, s17, 0
	v_mov_b32_e32 v11, 0
	s_waitcnt lgkmcnt(0)
	s_add_u32 s20, s0, 8
	v_mov_b32_e32 v12, 0
	v_mov_b32_e32 v1, v11
	s_addc_u32 s21, s1, 0
	s_mov_b64 s[22:23], 1
	v_mov_b32_e32 v2, v12
.LBB0_2:                                ; =>This Inner Loop Header: Depth=1
	s_load_dwordx2 s[24:25], s[20:21], 0x0
                                        ; implicit-def: $vgpr3_vgpr4
	s_waitcnt lgkmcnt(0)
	v_or_b32_e32 v6, s25, v8
	v_cmp_ne_u64_e32 vcc, 0, v[5:6]
	s_and_saveexec_b64 s[0:1], vcc
	s_xor_b64 s[26:27], exec, s[0:1]
	s_cbranch_execz .LBB0_4
; %bb.3:                                ;   in Loop: Header=BB0_2 Depth=1
	v_cvt_f32_u32_e32 v3, s24
	v_cvt_f32_u32_e32 v4, s25
	s_sub_u32 s0, 0, s24
	s_subb_u32 s1, 0, s25
	v_mac_f32_e32 v3, 0x4f800000, v4
	v_rcp_f32_e32 v3, v3
	v_mul_f32_e32 v3, 0x5f7ffffc, v3
	v_mul_f32_e32 v4, 0x2f800000, v3
	v_trunc_f32_e32 v4, v4
	v_mac_f32_e32 v3, 0xcf800000, v4
	v_cvt_u32_f32_e32 v4, v4
	v_cvt_u32_f32_e32 v3, v3
	v_mul_lo_u32 v6, s0, v4
	v_mul_hi_u32 v9, s0, v3
	v_mul_lo_u32 v13, s1, v3
	v_mul_lo_u32 v10, s0, v3
	v_add_u32_e32 v6, v9, v6
	v_add_u32_e32 v6, v6, v13
	v_mul_hi_u32 v9, v3, v10
	v_mul_lo_u32 v13, v3, v6
	v_mul_hi_u32 v15, v3, v6
	v_mul_hi_u32 v14, v4, v10
	v_mul_lo_u32 v10, v4, v10
	v_mul_hi_u32 v16, v4, v6
	v_add_co_u32_e32 v9, vcc, v9, v13
	v_addc_co_u32_e32 v13, vcc, 0, v15, vcc
	v_mul_lo_u32 v6, v4, v6
	v_add_co_u32_e32 v9, vcc, v9, v10
	v_addc_co_u32_e32 v9, vcc, v13, v14, vcc
	v_addc_co_u32_e32 v10, vcc, 0, v16, vcc
	v_add_co_u32_e32 v6, vcc, v9, v6
	v_addc_co_u32_e32 v9, vcc, 0, v10, vcc
	v_add_co_u32_e32 v3, vcc, v3, v6
	v_addc_co_u32_e32 v4, vcc, v4, v9, vcc
	v_mul_lo_u32 v6, s0, v4
	v_mul_hi_u32 v9, s0, v3
	v_mul_lo_u32 v10, s1, v3
	v_mul_lo_u32 v13, s0, v3
	v_add_u32_e32 v6, v9, v6
	v_add_u32_e32 v6, v6, v10
	v_mul_lo_u32 v14, v3, v6
	v_mul_hi_u32 v15, v3, v13
	v_mul_hi_u32 v16, v3, v6
	v_mul_hi_u32 v10, v4, v13
	v_mul_lo_u32 v13, v4, v13
	v_mul_hi_u32 v9, v4, v6
	v_add_co_u32_e32 v14, vcc, v15, v14
	v_addc_co_u32_e32 v15, vcc, 0, v16, vcc
	v_mul_lo_u32 v6, v4, v6
	v_add_co_u32_e32 v13, vcc, v14, v13
	v_addc_co_u32_e32 v10, vcc, v15, v10, vcc
	v_addc_co_u32_e32 v9, vcc, 0, v9, vcc
	v_add_co_u32_e32 v6, vcc, v10, v6
	v_addc_co_u32_e32 v9, vcc, 0, v9, vcc
	v_add_co_u32_e32 v6, vcc, v3, v6
	v_addc_co_u32_e32 v9, vcc, v4, v9, vcc
	v_mad_u64_u32 v[3:4], s[0:1], v7, v9, 0
	v_mul_hi_u32 v10, v7, v6
	v_add_co_u32_e32 v13, vcc, v10, v3
	v_addc_co_u32_e32 v14, vcc, 0, v4, vcc
	v_mad_u64_u32 v[3:4], s[0:1], v8, v6, 0
	v_mad_u64_u32 v[9:10], s[0:1], v8, v9, 0
	v_add_co_u32_e32 v3, vcc, v13, v3
	v_addc_co_u32_e32 v3, vcc, v14, v4, vcc
	v_addc_co_u32_e32 v4, vcc, 0, v10, vcc
	v_add_co_u32_e32 v6, vcc, v3, v9
	v_addc_co_u32_e32 v9, vcc, 0, v4, vcc
	v_mul_lo_u32 v10, s25, v6
	v_mul_lo_u32 v13, s24, v9
	v_mad_u64_u32 v[3:4], s[0:1], s24, v6, 0
	v_add3_u32 v4, v4, v13, v10
	v_sub_u32_e32 v10, v8, v4
	v_mov_b32_e32 v13, s25
	v_sub_co_u32_e32 v3, vcc, v7, v3
	v_subb_co_u32_e64 v10, s[0:1], v10, v13, vcc
	v_subrev_co_u32_e64 v13, s[0:1], s24, v3
	v_subbrev_co_u32_e64 v10, s[0:1], 0, v10, s[0:1]
	v_cmp_le_u32_e64 s[0:1], s25, v10
	v_cndmask_b32_e64 v14, 0, -1, s[0:1]
	v_cmp_le_u32_e64 s[0:1], s24, v13
	v_cndmask_b32_e64 v13, 0, -1, s[0:1]
	v_cmp_eq_u32_e64 s[0:1], s25, v10
	v_cndmask_b32_e64 v10, v14, v13, s[0:1]
	v_add_co_u32_e64 v13, s[0:1], 2, v6
	v_addc_co_u32_e64 v14, s[0:1], 0, v9, s[0:1]
	v_add_co_u32_e64 v15, s[0:1], 1, v6
	v_addc_co_u32_e64 v16, s[0:1], 0, v9, s[0:1]
	v_subb_co_u32_e32 v4, vcc, v8, v4, vcc
	v_cmp_ne_u32_e64 s[0:1], 0, v10
	v_cmp_le_u32_e32 vcc, s25, v4
	v_cndmask_b32_e64 v10, v16, v14, s[0:1]
	v_cndmask_b32_e64 v14, 0, -1, vcc
	v_cmp_le_u32_e32 vcc, s24, v3
	v_cndmask_b32_e64 v3, 0, -1, vcc
	v_cmp_eq_u32_e32 vcc, s25, v4
	v_cndmask_b32_e32 v3, v14, v3, vcc
	v_cmp_ne_u32_e32 vcc, 0, v3
	v_cndmask_b32_e64 v3, v15, v13, s[0:1]
	v_cndmask_b32_e32 v4, v9, v10, vcc
	v_cndmask_b32_e32 v3, v6, v3, vcc
.LBB0_4:                                ;   in Loop: Header=BB0_2 Depth=1
	s_andn2_saveexec_b64 s[0:1], s[26:27]
	s_cbranch_execz .LBB0_6
; %bb.5:                                ;   in Loop: Header=BB0_2 Depth=1
	v_cvt_f32_u32_e32 v3, s24
	s_sub_i32 s26, 0, s24
	v_rcp_iflag_f32_e32 v3, v3
	v_mul_f32_e32 v3, 0x4f7ffffe, v3
	v_cvt_u32_f32_e32 v3, v3
	v_mul_lo_u32 v4, s26, v3
	v_mul_hi_u32 v4, v3, v4
	v_add_u32_e32 v3, v3, v4
	v_mul_hi_u32 v3, v7, v3
	v_mul_lo_u32 v4, v3, s24
	v_add_u32_e32 v6, 1, v3
	v_sub_u32_e32 v4, v7, v4
	v_subrev_u32_e32 v9, s24, v4
	v_cmp_le_u32_e32 vcc, s24, v4
	v_cndmask_b32_e32 v4, v4, v9, vcc
	v_cndmask_b32_e32 v3, v3, v6, vcc
	v_add_u32_e32 v6, 1, v3
	v_cmp_le_u32_e32 vcc, s24, v4
	v_cndmask_b32_e32 v3, v3, v6, vcc
	v_mov_b32_e32 v4, v5
.LBB0_6:                                ;   in Loop: Header=BB0_2 Depth=1
	s_or_b64 exec, exec, s[0:1]
	v_mul_lo_u32 v6, v4, s24
	v_mul_lo_u32 v13, v3, s25
	v_mad_u64_u32 v[9:10], s[0:1], v3, s24, 0
	s_load_dwordx2 s[0:1], s[6:7], 0x0
	s_load_dwordx2 s[24:25], s[2:3], 0x0
	v_add3_u32 v6, v10, v13, v6
	v_sub_co_u32_e32 v7, vcc, v7, v9
	v_subb_co_u32_e32 v6, vcc, v8, v6, vcc
	s_waitcnt lgkmcnt(0)
	v_mul_lo_u32 v8, s0, v6
	v_mul_lo_u32 v9, s1, v7
	v_mad_u64_u32 v[11:12], s[0:1], s0, v7, v[11:12]
	v_mul_lo_u32 v6, s24, v6
	v_mul_lo_u32 v10, s25, v7
	v_mad_u64_u32 v[1:2], s[0:1], s24, v7, v[1:2]
	s_add_u32 s22, s22, 1
	s_addc_u32 s23, s23, 0
	s_add_u32 s2, s2, 8
	v_add3_u32 v2, v10, v2, v6
	s_addc_u32 s3, s3, 0
	v_mov_b32_e32 v6, s14
	s_add_u32 s6, s6, 8
	v_mov_b32_e32 v7, s15
	s_addc_u32 s7, s7, 0
	v_cmp_ge_u64_e32 vcc, s[22:23], v[6:7]
	s_add_u32 s20, s20, 8
	v_add3_u32 v12, v9, v12, v8
	s_addc_u32 s21, s21, 0
	s_cbranch_vccnz .LBB0_9
; %bb.7:                                ;   in Loop: Header=BB0_2 Depth=1
	v_mov_b32_e32 v8, v4
	v_mov_b32_e32 v7, v3
	s_branch .LBB0_2
.LBB0_8:
	v_mov_b32_e32 v1, v11
	v_mov_b32_e32 v3, v7
	;; [unrolled: 1-line block ×4, first 2 shown]
.LBB0_9:
	s_load_dwordx2 s[4:5], s[4:5], 0x28
	s_lshl_b64 s[6:7], s[14:15], 3
	s_add_u32 s2, s18, s6
	s_addc_u32 s3, s19, s7
                                        ; implicit-def: $vgpr5
                                        ; implicit-def: $vgpr7
                                        ; implicit-def: $vgpr10
                                        ; implicit-def: $vgpr9
	s_waitcnt lgkmcnt(0)
	v_cmp_gt_u64_e64 s[0:1], s[4:5], v[3:4]
	v_cmp_le_u64_e32 vcc, s[4:5], v[3:4]
	s_and_saveexec_b64 s[4:5], vcc
	s_xor_b64 s[4:5], exec, s[4:5]
; %bb.10:
	s_mov_b32 s14, 0x1e573ad
	v_mul_hi_u32 v5, v0, s14
                                        ; implicit-def: $vgpr11_vgpr12
	v_mul_u32_u24_e32 v5, 0x87, v5
	v_sub_u32_e32 v5, v0, v5
	v_add_u32_e32 v7, 0x87, v5
	v_add_u32_e32 v10, 0x10e, v5
	;; [unrolled: 1-line block ×3, first 2 shown]
                                        ; implicit-def: $vgpr0
; %bb.11:
	s_andn2_saveexec_b64 s[4:5], s[4:5]
	s_cbranch_execz .LBB0_13
; %bb.12:
	s_add_u32 s6, s16, s6
	s_addc_u32 s7, s17, s7
	s_load_dwordx2 s[6:7], s[6:7], 0x0
	s_mov_b32 s14, 0x1e573ad
	v_mul_hi_u32 v5, v0, s14
	s_waitcnt lgkmcnt(0)
	v_mul_lo_u32 v8, s7, v3
	v_mul_lo_u32 v9, s6, v4
	v_mad_u64_u32 v[6:7], s[6:7], s6, v3, 0
	v_mul_u32_u24_e32 v5, 0x87, v5
	v_sub_u32_e32 v5, v0, v5
	v_add3_u32 v7, v7, v9, v8
	v_lshlrev_b64 v[6:7], 2, v[6:7]
	v_mov_b32_e32 v0, s9
	v_add_co_u32_e32 v8, vcc, s8, v6
	v_addc_co_u32_e32 v0, vcc, v0, v7, vcc
	v_lshlrev_b64 v[6:7], 2, v[11:12]
	v_add_u32_e32 v10, 0x10e, v5
	v_add_co_u32_e32 v6, vcc, v8, v6
	v_addc_co_u32_e32 v0, vcc, v0, v7, vcc
	v_lshlrev_b32_e32 v8, 2, v5
	v_add_co_u32_e32 v6, vcc, v6, v8
	v_addc_co_u32_e32 v7, vcc, 0, v0, vcc
	global_load_dword v0, v[6:7], off
	global_load_dword v11, v[6:7], off offset:540
	global_load_dword v12, v[6:7], off offset:1080
	global_load_dword v13, v[6:7], off offset:1620
	global_load_dword v14, v[6:7], off offset:2160
	global_load_dword v15, v[6:7], off offset:2700
	global_load_dword v16, v[6:7], off offset:3240
	global_load_dword v17, v[6:7], off offset:3780
	v_add_co_u32_e32 v6, vcc, 0x1000, v6
	v_addc_co_u32_e32 v7, vcc, 0, v7, vcc
	global_load_dword v18, v[6:7], off offset:224
	global_load_dword v19, v[6:7], off offset:764
	v_add_u32_e32 v6, 0, v8
	v_add_u32_e32 v8, 0x400, v6
	;; [unrolled: 1-line block ×6, first 2 shown]
	s_waitcnt vmcnt(6)
	ds_write2_b32 v8, v12, v13 offset0:14 offset1:149
	ds_write2_b32 v6, v0, v11 offset1:135
	s_waitcnt vmcnt(4)
	ds_write2_b32 v20, v14, v15 offset0:28 offset1:163
	s_waitcnt vmcnt(2)
	ds_write2_b32 v21, v16, v17 offset0:42 offset1:177
	v_add_u32_e32 v0, 0x1000, v6
	s_waitcnt vmcnt(0)
	ds_write2_b32 v0, v18, v19 offset0:56 offset1:191
.LBB0_13:
	s_or_b64 exec, exec, s[4:5]
	v_lshl_add_u32 v0, v5, 2, 0
	v_add_u32_e32 v6, 0x400, v0
	v_add_u32_e32 v25, 0x800, v0
	;; [unrolled: 1-line block ×4, first 2 shown]
	s_load_dwordx2 s[4:5], s[2:3], 0x0
	s_waitcnt lgkmcnt(0)
	s_barrier
	ds_read2_b32 v[13:14], v6 offset0:14 offset1:149
	ds_read2_b32 v[15:16], v25 offset0:28 offset1:163
	;; [unrolled: 1-line block ×4, first 2 shown]
	ds_read2_b32 v[11:12], v0 offset1:135
	s_movk_i32 s6, 0x3b9c
	s_movk_i32 s2, 0x38b4
	s_waitcnt lgkmcnt(2)
	v_pk_add_f16 v24, v15, v17
	s_waitcnt lgkmcnt(1)
	v_pk_add_f16 v27, v13, v19 neg_lo:[0,1] neg_hi:[0,1]
	s_waitcnt lgkmcnt(0)
	v_pk_fma_f16 v24, v24, 0.5, v11 op_sel_hi:[1,0,1] neg_lo:[1,0,0] neg_hi:[1,0,0]
	v_pk_mul_f16 v28, v27, s6 op_sel_hi:[1,0]
	v_pk_add_f16 v29, v15, v17 neg_lo:[0,1] neg_hi:[0,1]
	v_pk_add_f16 v31, v13, v15 neg_lo:[0,1] neg_hi:[0,1]
	;; [unrolled: 1-line block ×3, first 2 shown]
	v_pk_add_f16 v23, v11, v13
	v_pk_mul_f16 v30, v29, s2 op_sel_hi:[1,0]
	v_pk_add_f16 v31, v31, v32
	v_pk_add_f16 v32, v24, v28 op_sel:[0,1] op_sel_hi:[1,0]
	v_pk_add_f16 v24, v24, v28 op_sel:[0,1] op_sel_hi:[1,0] neg_lo:[0,1] neg_hi:[0,1]
	v_pk_add_f16 v23, v23, v15
	v_pk_add_f16 v28, v32, v30 op_sel:[0,1] op_sel_hi:[1,0]
	s_mov_b32 s7, 0xffff
	v_pk_add_f16 v24, v24, v30 op_sel:[0,1] op_sel_hi:[1,0] neg_lo:[0,1] neg_hi:[0,1]
	v_pk_add_f16 v23, v23, v17
	v_bfi_b32 v30, s7, v28, v24
	s_movk_i32 s3, 0x34f2
	v_lshl_add_u32 v21, v5, 4, v0
	v_pk_add_f16 v23, v23, v19
	v_pk_fma_f16 v30, v31, s3, v30 op_sel_hi:[1,0,1]
	s_barrier
	ds_write2_b32 v21, v23, v30 offset1:1
	v_pk_add_f16 v23, v13, v19
	v_pk_add_f16 v13, v15, v13 neg_lo:[0,1] neg_hi:[0,1]
	v_pk_add_f16 v15, v17, v19 neg_lo:[0,1] neg_hi:[0,1]
	v_pk_fma_f16 v11, v23, 0.5, v11 op_sel_hi:[1,0,1] neg_lo:[1,0,0] neg_hi:[1,0,0]
	v_pk_add_f16 v13, v13, v15
	v_pk_mul_f16 v15, v29, s6 op_sel_hi:[1,0]
	v_pk_mul_f16 v17, v27, s2 op_sel_hi:[1,0]
	v_pk_add_f16 v19, v11, v15 op_sel:[0,1] op_sel_hi:[1,0] neg_lo:[0,1] neg_hi:[0,1]
	v_pk_add_f16 v11, v11, v15 op_sel:[0,1] op_sel_hi:[1,0]
	v_pk_add_f16 v15, v19, v17 op_sel:[0,1] op_sel_hi:[1,0]
	v_pk_add_f16 v11, v11, v17 op_sel:[0,1] op_sel_hi:[1,0] neg_lo:[0,1] neg_hi:[0,1]
	v_bfi_b32 v17, s7, v15, v11
	v_bfi_b32 v11, s7, v11, v15
	v_pk_fma_f16 v17, v13, s3, v17 op_sel_hi:[1,0,1]
	v_pk_fma_f16 v11, v13, s3, v11 op_sel_hi:[1,0,1]
	ds_write2_b32 v21, v17, v11 offset0:2 offset1:3
	v_bfi_b32 v11, s7, v24, v28
	v_pk_fma_f16 v11, v31, s3, v11 op_sel_hi:[1,0,1]
	ds_write_b32 v21, v11 offset:16
	v_pk_add_f16 v11, v16, v18
	v_pk_add_f16 v13, v14, v20 neg_lo:[0,1] neg_hi:[0,1]
	v_pk_fma_f16 v11, v11, 0.5, v12 op_sel_hi:[1,0,1] neg_lo:[1,0,0] neg_hi:[1,0,0]
	v_pk_mul_f16 v15, v13, s6 op_sel_hi:[1,0]
	v_pk_add_f16 v17, v16, v18 neg_lo:[0,1] neg_hi:[0,1]
	v_pk_add_f16 v21, v14, v16 neg_lo:[0,1] neg_hi:[0,1]
	;; [unrolled: 1-line block ×3, first 2 shown]
	v_pk_add_f16 v22, v12, v14
	v_pk_mul_f16 v19, v17, s2 op_sel_hi:[1,0]
	v_pk_add_f16 v21, v21, v23
	v_pk_add_f16 v23, v11, v15 op_sel:[0,1] op_sel_hi:[1,0]
	v_pk_add_f16 v11, v11, v15 op_sel:[0,1] op_sel_hi:[1,0] neg_lo:[0,1] neg_hi:[0,1]
	v_pk_add_f16 v22, v22, v16
	v_pk_add_f16 v15, v23, v19 op_sel:[0,1] op_sel_hi:[1,0]
	v_pk_add_f16 v11, v11, v19 op_sel:[0,1] op_sel_hi:[1,0] neg_lo:[0,1] neg_hi:[0,1]
	v_pk_add_f16 v22, v22, v18
	v_bfi_b32 v19, s7, v15, v11
	v_mad_i32_i24 v6, v7, 20, 0
	v_pk_add_f16 v22, v22, v20
	v_pk_fma_f16 v19, v21, s3, v19 op_sel_hi:[1,0,1]
	ds_write2_b32 v6, v22, v19 offset1:1
	v_pk_add_f16 v19, v14, v20
	v_pk_add_f16 v14, v16, v14 neg_lo:[0,1] neg_hi:[0,1]
	v_pk_add_f16 v16, v18, v20 neg_lo:[0,1] neg_hi:[0,1]
	v_pk_fma_f16 v12, v19, 0.5, v12 op_sel_hi:[1,0,1] neg_lo:[1,0,0] neg_hi:[1,0,0]
	v_pk_add_f16 v14, v14, v16
	v_pk_mul_f16 v16, v17, s6 op_sel_hi:[1,0]
	v_pk_mul_f16 v13, v13, s2 op_sel_hi:[1,0]
	v_pk_add_f16 v17, v12, v16 op_sel:[0,1] op_sel_hi:[1,0] neg_lo:[0,1] neg_hi:[0,1]
	v_pk_add_f16 v12, v12, v16 op_sel:[0,1] op_sel_hi:[1,0]
	v_pk_add_f16 v16, v17, v13 op_sel:[0,1] op_sel_hi:[1,0]
	v_pk_add_f16 v12, v12, v13 op_sel:[0,1] op_sel_hi:[1,0] neg_lo:[0,1] neg_hi:[0,1]
	v_bfi_b32 v11, s7, v11, v15
	v_bfi_b32 v13, s7, v16, v12
	;; [unrolled: 1-line block ×3, first 2 shown]
	v_pk_fma_f16 v11, v21, s3, v11 op_sel_hi:[1,0,1]
	s_movk_i32 s7, 0xcd
	ds_write_b32 v6, v11 offset:16
	v_mul_lo_u16_sdwa v11, v5, s7 dst_sel:DWORD dst_unused:UNUSED_PAD src0_sel:BYTE_0 src1_sel:DWORD
	v_lshrrev_b16_e32 v29, 10, v11
	v_mul_lo_u16_e32 v11, 5, v29
	v_sub_u16_e32 v30, v5, v11
	v_mov_b32_e32 v11, 9
	v_mul_u32_u24_sdwa v11, v30, v11 dst_sel:DWORD dst_unused:UNUSED_PAD src0_sel:BYTE_0 src1_sel:DWORD
	v_pk_fma_f16 v13, v14, s3, v13 op_sel_hi:[1,0,1]
	v_pk_fma_f16 v12, v14, s3, v12 op_sel_hi:[1,0,1]
	v_lshlrev_b32_e32 v15, 2, v11
	ds_write2_b32 v6, v13, v12 offset0:2 offset1:3
	s_waitcnt lgkmcnt(0)
	s_barrier
	global_load_dwordx4 v[11:14], v15, s[12:13]
	global_load_dwordx4 v[21:24], v15, s[12:13] offset:16
	global_load_dword v31, v15, s[12:13] offset:32
	v_lshlrev_b32_e32 v17, 4, v7
	v_sub_u32_e32 v18, v6, v17
	v_lshl_add_u32 v20, v10, 2, 0
	ds_read_b32 v32, v0
	ds_read_b32 v33, v20
	v_lshl_add_u32 v19, v9, 2, 0
	ds_read2_b32 v[15:16], v26 offset0:42 offset1:177
	ds_read_b32 v34, v18
	ds_read_b32 v35, v19
	ds_read2_b32 v[25:26], v25 offset0:28 offset1:163
	ds_read2_b32 v[27:28], v8 offset0:56 offset1:191
	s_waitcnt lgkmcnt(4)
	v_lshrrev_b32_e32 v37, 16, v15
	s_waitcnt lgkmcnt(3)
	v_lshrrev_b32_e32 v39, 16, v34
	v_lshrrev_b32_e32 v38, 16, v16
	s_waitcnt lgkmcnt(1)
	v_lshrrev_b32_e32 v41, 16, v26
	s_mov_b32 s8, 0xbb9c
	s_mov_b32 s7, 0xb8b4
	v_lshrrev_b32_e32 v36, 16, v32
	s_movk_i32 s9, 0x3a79
	s_waitcnt vmcnt(0) lgkmcnt(0)
	s_barrier
	v_cmp_gt_u32_e32 vcc, 45, v5
	v_mul_f16_sdwa v40, v11, v39 dst_sel:DWORD dst_unused:UNUSED_PAD src0_sel:WORD_1 src1_sel:DWORD
	v_fma_f16 v40, v11, v34, -v40
	v_mul_f16_sdwa v34, v11, v34 dst_sel:DWORD dst_unused:UNUSED_PAD src0_sel:WORD_1 src1_sel:DWORD
	v_fma_f16 v11, v11, v39, v34
	v_lshrrev_b32_e32 v34, 16, v33
	v_mul_f16_sdwa v39, v12, v34 dst_sel:DWORD dst_unused:UNUSED_PAD src0_sel:WORD_1 src1_sel:DWORD
	v_fma_f16 v39, v12, v33, -v39
	v_mul_f16_sdwa v33, v12, v33 dst_sel:DWORD dst_unused:UNUSED_PAD src0_sel:WORD_1 src1_sel:DWORD
	v_fma_f16 v12, v12, v34, v33
	v_lshrrev_b32_e32 v33, 16, v35
	v_mul_f16_sdwa v42, v21, v41 dst_sel:DWORD dst_unused:UNUSED_PAD src0_sel:WORD_1 src1_sel:DWORD
	v_mul_f16_sdwa v34, v13, v33 dst_sel:DWORD dst_unused:UNUSED_PAD src0_sel:WORD_1 src1_sel:DWORD
	v_fma_f16 v42, v21, v26, -v42
	v_mul_f16_sdwa v26, v21, v26 dst_sel:DWORD dst_unused:UNUSED_PAD src0_sel:WORD_1 src1_sel:DWORD
	v_fma_f16 v34, v13, v35, -v34
	v_mul_f16_sdwa v35, v13, v35 dst_sel:DWORD dst_unused:UNUSED_PAD src0_sel:WORD_1 src1_sel:DWORD
	v_fma_f16 v21, v21, v41, v26
	v_mul_f16_sdwa v26, v37, v22 dst_sel:DWORD dst_unused:UNUSED_PAD src0_sel:DWORD src1_sel:WORD_1
	v_fma_f16 v13, v13, v33, v35
	v_lshrrev_b32_e32 v33, 16, v25
	v_mul_f16_sdwa v35, v14, v25 dst_sel:DWORD dst_unused:UNUSED_PAD src0_sel:WORD_1 src1_sel:DWORD
	v_fma_f16 v26, v15, v22, -v26
	v_mul_f16_sdwa v15, v15, v22 dst_sel:DWORD dst_unused:UNUSED_PAD src0_sel:DWORD src1_sel:WORD_1
	v_fma_f16 v35, v14, v33, v35
	v_mul_f16_sdwa v33, v14, v33 dst_sel:DWORD dst_unused:UNUSED_PAD src0_sel:WORD_1 src1_sel:DWORD
	v_fma_f16 v15, v37, v22, v15
	v_mul_f16_sdwa v22, v38, v23 dst_sel:DWORD dst_unused:UNUSED_PAD src0_sel:DWORD src1_sel:WORD_1
	v_fma_f16 v14, v14, v25, -v33
	v_lshrrev_b32_e32 v25, 16, v27
	v_fma_f16 v22, v16, v23, -v22
	v_mul_f16_sdwa v16, v16, v23 dst_sel:DWORD dst_unused:UNUSED_PAD src0_sel:DWORD src1_sel:WORD_1
	v_fma_f16 v16, v38, v23, v16
	v_mul_f16_sdwa v23, v25, v24 dst_sel:DWORD dst_unused:UNUSED_PAD src0_sel:DWORD src1_sel:WORD_1
	v_lshrrev_b32_e32 v33, 16, v28
	v_fma_f16 v23, v27, v24, -v23
	v_mul_f16_sdwa v27, v27, v24 dst_sel:DWORD dst_unused:UNUSED_PAD src0_sel:DWORD src1_sel:WORD_1
	v_fma_f16 v24, v25, v24, v27
	v_mul_f16_sdwa v25, v33, v31 dst_sel:DWORD dst_unused:UNUSED_PAD src0_sel:DWORD src1_sel:WORD_1
	v_mul_f16_sdwa v27, v28, v31 dst_sel:DWORD dst_unused:UNUSED_PAD src0_sel:DWORD src1_sel:WORD_1
	v_fma_f16 v25, v28, v31, -v25
	v_fma_f16 v27, v33, v31, v27
	v_add_f16_e32 v31, v14, v26
	v_fma_f16 v31, v31, -0.5, v32
	v_sub_f16_e32 v33, v12, v24
	v_fma_f16 v37, v33, s6, v31
	v_sub_f16_e32 v38, v35, v15
	v_sub_f16_e32 v41, v39, v14
	;; [unrolled: 1-line block ×3, first 2 shown]
	v_fma_f16 v31, v33, s8, v31
	v_fma_f16 v37, v38, s2, v37
	v_add_f16_e32 v41, v41, v43
	v_fma_f16 v31, v38, s7, v31
	v_add_f16_e32 v28, v32, v39
	v_fma_f16 v37, v41, s3, v37
	v_fma_f16 v31, v41, s3, v31
	v_add_f16_e32 v41, v39, v23
	v_add_f16_e32 v28, v28, v14
	v_fma_f16 v32, v41, -0.5, v32
	v_sub_f16_e32 v41, v14, v39
	v_sub_f16_e32 v43, v26, v23
	v_add_f16_e32 v28, v28, v26
	v_add_f16_e32 v41, v41, v43
	v_fma_f16 v43, v38, s8, v32
	v_fma_f16 v32, v38, s6, v32
	v_add_f16_e32 v38, v35, v15
	v_add_f16_e32 v28, v28, v23
	v_fma_f16 v38, v38, -0.5, v36
	v_sub_f16_e32 v23, v39, v23
	v_fma_f16 v43, v33, s2, v43
	v_fma_f16 v32, v33, s7, v32
	;; [unrolled: 1-line block ×3, first 2 shown]
	v_sub_f16_e32 v14, v14, v26
	v_fma_f16 v43, v41, s3, v43
	v_fma_f16 v32, v41, s3, v32
	;; [unrolled: 1-line block ×3, first 2 shown]
	v_sub_f16_e32 v39, v12, v35
	v_sub_f16_e32 v41, v24, v15
	v_fma_f16 v38, v23, s6, v38
	v_add_f16_e32 v39, v39, v41
	v_fma_f16 v38, v14, s2, v38
	v_fma_f16 v26, v39, s3, v26
	;; [unrolled: 1-line block ×3, first 2 shown]
	v_add_f16_e32 v39, v12, v24
	v_add_f16_e32 v33, v36, v12
	v_fma_f16 v36, v39, -0.5, v36
	v_add_f16_e32 v33, v33, v35
	v_fma_f16 v39, v14, s6, v36
	v_fma_f16 v14, v14, s8, v36
	v_add_f16_e32 v33, v33, v15
	v_fma_f16 v39, v23, s7, v39
	v_sub_f16_e32 v12, v35, v12
	v_sub_f16_e32 v15, v15, v24
	v_fma_f16 v14, v23, s2, v14
	v_add_f16_e32 v23, v42, v22
	v_add_f16_e32 v33, v33, v24
	;; [unrolled: 1-line block ×3, first 2 shown]
	v_fma_f16 v23, v23, -0.5, v40
	v_sub_f16_e32 v24, v13, v27
	v_fma_f16 v15, v12, s3, v39
	v_fma_f16 v35, v24, s6, v23
	v_sub_f16_e32 v36, v21, v16
	v_sub_f16_e32 v39, v34, v42
	;; [unrolled: 1-line block ×3, first 2 shown]
	v_fma_f16 v23, v24, s8, v23
	v_fma_f16 v35, v36, s2, v35
	v_add_f16_e32 v39, v39, v41
	v_fma_f16 v23, v36, s7, v23
	v_fma_f16 v12, v12, s3, v14
	v_add_f16_e32 v14, v40, v34
	v_fma_f16 v35, v39, s3, v35
	v_fma_f16 v23, v39, s3, v23
	v_add_f16_e32 v39, v34, v25
	v_add_f16_e32 v14, v14, v42
	v_fma_f16 v39, v39, -0.5, v40
	v_sub_f16_e32 v40, v42, v34
	v_sub_f16_e32 v41, v22, v25
	v_add_f16_e32 v14, v14, v22
	v_add_f16_e32 v40, v40, v41
	v_fma_f16 v41, v36, s8, v39
	v_fma_f16 v36, v36, s6, v39
	v_add_f16_e32 v39, v21, v16
	v_add_f16_e32 v14, v14, v25
	v_fma_f16 v41, v24, s2, v41
	v_fma_f16 v24, v24, s7, v36
	v_fma_f16 v39, v39, -0.5, v11
	v_sub_f16_e32 v25, v34, v25
	v_fma_f16 v41, v40, s3, v41
	v_fma_f16 v24, v40, s3, v24
	;; [unrolled: 1-line block ×3, first 2 shown]
	v_sub_f16_e32 v22, v42, v22
	v_sub_f16_e32 v40, v13, v21
	;; [unrolled: 1-line block ×3, first 2 shown]
	v_fma_f16 v39, v25, s6, v39
	v_fma_f16 v34, v22, s7, v34
	v_add_f16_e32 v40, v40, v42
	v_fma_f16 v39, v22, s2, v39
	v_add_f16_e32 v36, v11, v13
	v_fma_f16 v34, v40, s3, v34
	v_fma_f16 v39, v40, s3, v39
	v_add_f16_e32 v40, v13, v27
	v_add_f16_e32 v36, v36, v21
	v_fma_f16 v11, v40, -0.5, v11
	v_add_f16_e32 v36, v36, v16
	v_fma_f16 v40, v22, s6, v11
	v_sub_f16_e32 v13, v21, v13
	v_sub_f16_e32 v16, v16, v27
	v_fma_f16 v40, v25, s7, v40
	v_add_f16_e32 v13, v13, v16
	v_fma_f16 v11, v22, s8, v11
	v_fma_f16 v16, v13, s3, v40
	;; [unrolled: 1-line block ×3, first 2 shown]
	v_mul_f16_e32 v21, 0x38b4, v34
	v_add_f16_e32 v36, v36, v27
	v_fma_f16 v11, v13, s3, v11
	v_fma_f16 v21, v35, s9, v21
	v_mul_f16_e32 v22, 0x3b9c, v16
	v_mul_f16_e32 v27, 0x34f2, v24
	;; [unrolled: 1-line block ×3, first 2 shown]
	v_fma_f16 v22, v41, s3, v22
	v_fma_f16 v27, v11, s6, -v27
	v_fma_f16 v34, v34, s9, v35
	v_mul_f16_e32 v35, 0x3a79, v23
	v_mul_f16_e32 v41, 0xbb9c, v41
	v_mul_f16_e32 v11, 0x34f2, v11
	v_add_f16_e32 v25, v37, v21
	v_fma_f16 v35, v39, s2, -v35
	v_fma_f16 v16, v16, s3, v41
	v_fma_f16 v11, v24, s8, -v11
	v_mul_f16_e32 v39, 0x3a79, v39
	v_sub_f16_e32 v37, v37, v21
	v_mov_b32_e32 v21, 2
	v_add_f16_e32 v13, v28, v14
	v_add_f16_e32 v24, v33, v36
	v_fma_f16 v23, v23, s7, -v39
	v_add_f16_e32 v39, v26, v34
	v_sub_f16_e32 v14, v28, v14
	v_add_f16_e32 v28, v15, v16
	v_add_f16_e32 v44, v12, v11
	v_sub_f16_e32 v15, v15, v16
	v_sub_f16_e32 v11, v12, v11
	v_mul_u32_u24_e32 v12, 0xc8, v29
	v_lshlrev_b32_sdwa v16, v21, v30 dst_sel:DWORD dst_unused:UNUSED_PAD src0_sel:DWORD src1_sel:BYTE_0
	v_add_f16_e32 v40, v43, v22
	v_add_f16_e32 v42, v32, v27
	v_add3_u32 v12, 0, v12, v16
	v_pack_b32_f16 v13, v13, v24
	v_pack_b32_f16 v16, v25, v39
	v_add_f16_e32 v41, v31, v35
	v_sub_f16_e32 v43, v43, v22
	v_add_f16_e32 v45, v38, v23
	v_sub_f16_e32 v22, v31, v35
	v_sub_f16_e32 v31, v33, v36
	ds_write2_b32 v12, v13, v16 offset1:5
	v_pack_b32_f16 v13, v40, v28
	v_pack_b32_f16 v16, v42, v44
	v_sub_f16_e32 v26, v26, v34
	ds_write2_b32 v12, v13, v16 offset0:10 offset1:15
	v_pack_b32_f16 v13, v41, v45
	v_pack_b32_f16 v14, v14, v31
	v_sub_f16_e32 v32, v32, v27
	v_sub_f16_e32 v27, v38, v23
	ds_write2_b32 v12, v13, v14 offset0:20 offset1:25
	v_pack_b32_f16 v13, v37, v26
	v_pack_b32_f16 v14, v43, v15
	ds_write2_b32 v12, v13, v14 offset0:30 offset1:35
	v_pack_b32_f16 v11, v32, v11
	v_pack_b32_f16 v13, v22, v27
	ds_write2_b32 v12, v11, v13 offset0:40 offset1:45
	v_add_u32_e32 v11, 0x600, v0
	s_waitcnt lgkmcnt(0)
	s_barrier
	ds_read2_b32 v[15:16], v11 offset0:66 offset1:201
	v_add_u32_e32 v11, 0xb00, v0
	ds_read_b32 v26, v0
	ds_read2_b32 v[13:14], v11 offset0:16 offset1:196
	ds_read2_b32 v[11:12], v8 offset0:11 offset1:146
	ds_read_b32 v25, v18
	ds_read_b32 v8, v20
                                        ; implicit-def: $vgpr29
                                        ; implicit-def: $vgpr28
                                        ; implicit-def: $vgpr31
                                        ; implicit-def: $vgpr30
	s_and_saveexec_b64 s[2:3], vcc
	s_cbranch_execz .LBB0_15
; %bb.14:
	ds_read_b32 v22, v19
	ds_read_b32 v28, v0 offset:5220
	ds_read_b32 v30, v0 offset:3420
	s_waitcnt lgkmcnt(2)
	v_lshrrev_b32_e32 v27, 16, v22
	s_waitcnt lgkmcnt(1)
	v_lshrrev_b32_e32 v29, 16, v28
	;; [unrolled: 2-line block ×3, first 2 shown]
.LBB0_15:
	s_or_b64 exec, exec, s[2:3]
	v_mov_b32_e32 v18, 41
	v_mul_lo_u16_sdwa v18, v5, v18 dst_sel:DWORD dst_unused:UNUSED_PAD src0_sel:BYTE_0 src1_sel:DWORD
	v_lshrrev_b16_e32 v40, 11, v18
	v_mul_lo_u16_e32 v18, 50, v40
	v_sub_u16_e32 v41, v5, v18
	v_mov_b32_e32 v18, 3
	v_lshlrev_b32_sdwa v18, v18, v41 dst_sel:DWORD dst_unused:UNUSED_PAD src0_sel:DWORD src1_sel:BYTE_0
	global_load_dwordx2 v[32:33], v18, s[12:13] offset:180
	v_lshrrev_b16_e32 v18, 1, v7
	v_mul_u32_u24_e32 v18, 0x147b, v18
	v_lshrrev_b32_e32 v42, 17, v18
	v_mul_lo_u16_e32 v18, 50, v42
	v_sub_u16_e32 v43, v7, v18
	v_lshlrev_b32_e32 v18, 3, v43
	v_lshrrev_b16_e32 v24, 1, v10
	global_load_dwordx2 v[34:35], v18, s[12:13] offset:180
	v_mul_u32_u24_e32 v18, 0x147b, v24
	v_lshrrev_b32_e32 v44, 17, v18
	v_mul_lo_u16_e32 v18, 50, v44
	v_sub_u16_e32 v45, v10, v18
	v_lshlrev_b32_e32 v18, 3, v45
	v_lshrrev_b16_e32 v23, 1, v9
	global_load_dwordx2 v[36:37], v18, s[12:13] offset:180
	v_mul_u32_u24_e32 v18, 0x147b, v23
	v_lshrrev_b32_e32 v18, 17, v18
	v_mul_lo_u16_e32 v18, 50, v18
	v_sub_u16_e32 v18, v9, v18
	v_lshlrev_b32_e32 v38, 3, v18
	global_load_dwordx2 v[38:39], v38, s[12:13] offset:180
	s_waitcnt lgkmcnt(5)
	v_lshrrev_b32_e32 v46, 16, v15
	s_waitcnt lgkmcnt(3)
	v_lshrrev_b32_e32 v48, 16, v14
	s_movk_i32 s2, 0x3aee
	s_mov_b32 s3, 0xbaee
	v_lshlrev_b32_sdwa v21, v21, v41 dst_sel:DWORD dst_unused:UNUSED_PAD src0_sel:DWORD src1_sel:BYTE_0
	s_waitcnt vmcnt(0) lgkmcnt(0)
	s_barrier
	v_mul_f16_sdwa v47, v32, v15 dst_sel:DWORD dst_unused:UNUSED_PAD src0_sel:WORD_1 src1_sel:DWORD
	v_fma_f16 v47, v32, v46, v47
	v_mul_f16_sdwa v46, v32, v46 dst_sel:DWORD dst_unused:UNUSED_PAD src0_sel:WORD_1 src1_sel:DWORD
	v_mul_f16_sdwa v49, v33, v14 dst_sel:DWORD dst_unused:UNUSED_PAD src0_sel:WORD_1 src1_sel:DWORD
	v_fma_f16 v49, v33, v48, v49
	v_mul_f16_sdwa v48, v33, v48 dst_sel:DWORD dst_unused:UNUSED_PAD src0_sel:WORD_1 src1_sel:DWORD
	v_fma_f16 v15, v32, v15, -v46
	v_lshrrev_b32_e32 v32, 16, v16
	v_fma_f16 v14, v33, v14, -v48
	v_mul_f16_sdwa v33, v34, v32 dst_sel:DWORD dst_unused:UNUSED_PAD src0_sel:WORD_1 src1_sel:DWORD
	v_fma_f16 v33, v34, v16, -v33
	v_mul_f16_sdwa v16, v34, v16 dst_sel:DWORD dst_unused:UNUSED_PAD src0_sel:WORD_1 src1_sel:DWORD
	v_fma_f16 v16, v34, v32, v16
	v_lshrrev_b32_e32 v32, 16, v11
	v_mul_f16_sdwa v34, v35, v11 dst_sel:DWORD dst_unused:UNUSED_PAD src0_sel:WORD_1 src1_sel:DWORD
	v_fma_f16 v34, v35, v32, v34
	v_mul_f16_sdwa v32, v35, v32 dst_sel:DWORD dst_unused:UNUSED_PAD src0_sel:WORD_1 src1_sel:DWORD
	v_fma_f16 v11, v35, v11, -v32
	v_lshrrev_b32_e32 v32, 16, v13
	v_mul_f16_sdwa v35, v36, v32 dst_sel:DWORD dst_unused:UNUSED_PAD src0_sel:WORD_1 src1_sel:DWORD
	v_fma_f16 v35, v36, v13, -v35
	v_mul_f16_sdwa v13, v36, v13 dst_sel:DWORD dst_unused:UNUSED_PAD src0_sel:WORD_1 src1_sel:DWORD
	v_lshrrev_b32_e32 v46, 16, v12
	v_fma_f16 v13, v36, v32, v13
	v_mul_f16_sdwa v36, v31, v38 dst_sel:DWORD dst_unused:UNUSED_PAD src0_sel:DWORD src1_sel:WORD_1
	v_mul_f16_sdwa v48, v37, v46 dst_sel:DWORD dst_unused:UNUSED_PAD src0_sel:WORD_1 src1_sel:DWORD
	v_fma_f16 v36, v30, v38, -v36
	v_mul_f16_sdwa v30, v30, v38 dst_sel:DWORD dst_unused:UNUSED_PAD src0_sel:DWORD src1_sel:WORD_1
	v_fma_f16 v48, v37, v12, -v48
	v_mul_f16_sdwa v12, v37, v12 dst_sel:DWORD dst_unused:UNUSED_PAD src0_sel:WORD_1 src1_sel:DWORD
	v_fma_f16 v30, v31, v38, v30
	v_mul_f16_sdwa v31, v29, v39 dst_sel:DWORD dst_unused:UNUSED_PAD src0_sel:DWORD src1_sel:WORD_1
	v_fma_f16 v12, v37, v46, v12
	v_fma_f16 v31, v28, v39, -v31
	v_mul_f16_sdwa v28, v28, v39 dst_sel:DWORD dst_unused:UNUSED_PAD src0_sel:DWORD src1_sel:WORD_1
	v_add_f16_e32 v37, v15, v14
	v_lshrrev_b32_e32 v32, 16, v26
	v_fma_f16 v28, v29, v39, v28
	v_add_f16_e32 v29, v26, v15
	v_sub_f16_e32 v38, v47, v49
	v_add_f16_e32 v39, v47, v49
	v_fma_f16 v26, v37, -0.5, v26
	v_add_f16_e32 v37, v33, v11
	v_sub_f16_e32 v15, v15, v14
	v_add_f16_e32 v14, v29, v14
	v_add_f16_e32 v29, v32, v47
	v_sub_f16_e32 v46, v16, v34
	v_fma_f16 v32, v39, -0.5, v32
	v_fma_f16 v37, v37, -0.5, v25
	v_fma_f16 v39, v38, s2, v26
	v_fma_f16 v38, v38, s3, v26
	v_lshrrev_b32_e32 v26, 16, v25
	v_fma_f16 v47, v15, s3, v32
	v_fma_f16 v15, v15, s2, v32
	;; [unrolled: 1-line block ×4, first 2 shown]
	v_add_f16_e32 v46, v26, v16
	v_add_f16_e32 v16, v16, v34
	;; [unrolled: 1-line block ×5, first 2 shown]
	v_fma_f16 v16, v16, -0.5, v26
	v_sub_f16_e32 v11, v33, v11
	v_fma_f16 v33, v11, s3, v16
	v_fma_f16 v16, v11, s2, v16
	v_add_f16_e32 v11, v35, v48
	v_fma_f16 v11, v11, -0.5, v8
	v_sub_f16_e32 v25, v13, v12
	v_add_f16_e32 v29, v29, v49
	v_fma_f16 v49, v25, s2, v11
	v_fma_f16 v50, v25, s3, v11
	v_lshrrev_b32_e32 v11, 16, v8
	v_add_f16_e32 v25, v11, v13
	v_add_f16_e32 v51, v25, v12
	;; [unrolled: 1-line block ×4, first 2 shown]
	v_fma_f16 v11, v12, -0.5, v11
	v_add_f16_e32 v12, v8, v48
	v_sub_f16_e32 v8, v35, v48
	v_fma_f16 v13, v8, s3, v11
	v_fma_f16 v35, v8, s2, v11
	v_add_f16_e32 v8, v36, v31
	v_fma_f16 v8, v8, -0.5, v22
	v_sub_f16_e32 v11, v30, v28
	v_fma_f16 v26, v11, s2, v8
	v_fma_f16 v25, v11, s3, v8
	v_add_f16_e32 v11, v30, v28
	v_add_f16_e32 v8, v27, v30
	v_fma_f16 v27, v11, -0.5, v27
	v_sub_u32_e32 v11, 0, v17
	v_add_f16_e32 v17, v22, v36
	v_add_f16_e32 v22, v17, v31
	v_sub_f16_e32 v17, v36, v31
	v_add_f16_e32 v8, v8, v28
	v_fma_f16 v28, v17, s3, v27
	v_fma_f16 v27, v17, s2, v27
	v_mul_u32_u24_e32 v17, 0x258, v40
	v_add3_u32 v17, 0, v17, v21
	v_pack_b32_f16 v14, v14, v29
	v_pack_b32_f16 v21, v39, v47
	ds_write2_b32 v17, v14, v21 offset1:50
	v_pack_b32_f16 v14, v38, v15
	ds_write_b32 v17, v14 offset:400
	v_mul_u32_u24_e32 v14, 0x258, v42
	v_lshlrev_b32_e32 v15, 2, v43
	v_add3_u32 v14, 0, v14, v15
	v_pack_b32_f16 v15, v34, v46
	v_pack_b32_f16 v17, v32, v33
	ds_write2_b32 v14, v15, v17 offset1:50
	v_pack_b32_f16 v15, v37, v16
	ds_write_b32 v14, v15 offset:400
	v_mul_u32_u24_e32 v14, 0x258, v44
	v_lshlrev_b32_e32 v15, 2, v45
	v_add3_u32 v14, 0, v14, v15
	v_pack_b32_f16 v12, v12, v51
	v_pack_b32_f16 v13, v49, v13
	ds_write2_b32 v14, v12, v13 offset1:50
	v_pack_b32_f16 v12, v50, v35
	ds_write_b32 v14, v12 offset:400
	s_and_saveexec_b64 s[2:3], vcc
	s_cbranch_execz .LBB0_17
; %bb.16:
	v_lshl_add_u32 v12, v18, 2, 0
	s_mov_b32 s6, 0x5040100
	v_perm_b32 v13, v8, v22, s6
	v_perm_b32 v14, v28, v26, s6
	v_add_u32_e32 v15, 0x1000, v12
	ds_write2_b32 v15, v13, v14 offset0:176 offset1:226
	v_perm_b32 v13, v27, v25, s6
	ds_write_b32 v12, v13 offset:5200
.LBB0_17:
	s_or_b64 exec, exec, s[2:3]
	v_add_u32_e32 v12, 0x600, v0
	s_waitcnt lgkmcnt(0)
	s_barrier
	ds_read2_b32 v[17:18], v12 offset0:66 offset1:201
	v_add_u32_e32 v12, 0xb00, v0
	v_add_u32_e32 v21, v6, v11
	;; [unrolled: 1-line block ×3, first 2 shown]
	ds_read_b32 v30, v0
	ds_read2_b32 v[13:14], v12 offset0:16 offset1:196
	ds_read2_b32 v[15:16], v6 offset0:11 offset1:146
	ds_read_b32 v29, v21
	ds_read_b32 v6, v20
	s_and_saveexec_b64 s[2:3], vcc
	s_cbranch_execz .LBB0_19
; %bb.18:
	ds_read_b32 v22, v19
	ds_read_b32 v25, v0 offset:5220
	ds_read_b32 v26, v0 offset:3420
	s_waitcnt lgkmcnt(2)
	v_lshrrev_b32_e32 v8, 16, v22
	s_waitcnt lgkmcnt(1)
	v_lshrrev_b32_e32 v27, 16, v25
	;; [unrolled: 2-line block ×3, first 2 shown]
.LBB0_19:
	s_or_b64 exec, exec, s[2:3]
	v_lshlrev_b32_e32 v31, 1, v5
	v_mov_b32_e32 v32, 0
	v_lshlrev_b64 v[11:12], 2, v[31:32]
	v_mov_b32_e32 v35, s13
	v_add_co_u32_e64 v11, s[2:3], s12, v11
	v_addc_co_u32_e64 v12, s[2:3], v35, v12, s[2:3]
	v_add_u32_e32 v31, -15, v5
	v_cmp_gt_u32_e64 s[2:3], 15, v5
	v_cndmask_b32_e64 v39, v31, v7, s[2:3]
	v_lshlrev_b32_e32 v31, 1, v39
	v_lshlrev_b64 v[31:32], 2, v[31:32]
	v_mul_u32_u24_e32 v24, 0xda75, v24
	v_add_co_u32_e64 v31, s[2:3], s12, v31
	v_addc_co_u32_e64 v32, s[2:3], v35, v32, s[2:3]
	v_mul_u32_u24_e32 v23, 0xda75, v23
	global_load_dwordx2 v[33:34], v[11:12], off offset:580
	global_load_dwordx2 v[35:36], v[31:32], off offset:580
	v_lshrrev_b32_e32 v40, 22, v24
	v_lshrrev_b32_e32 v31, 22, v23
	v_mul_lo_u16_e32 v24, 0x96, v40
	v_mul_lo_u16_e32 v31, 0x96, v31
	v_sub_u16_e32 v41, v10, v24
	v_sub_u16_e32 v31, v9, v31
	v_lshlrev_b32_e32 v24, 3, v41
	v_lshlrev_b32_e32 v32, 3, v31
	global_load_dwordx2 v[23:24], v24, s[12:13] offset:580
	s_waitcnt lgkmcnt(5)
	v_lshrrev_b32_e32 v44, 16, v17
	global_load_dwordx2 v[37:38], v32, s[12:13] offset:580
	s_waitcnt lgkmcnt(3)
	v_lshrrev_b32_e32 v45, 16, v14
	v_lshrrev_b32_e32 v46, 16, v18
	s_waitcnt lgkmcnt(2)
	v_lshrrev_b32_e32 v47, 16, v15
	v_lshrrev_b32_e32 v32, 16, v30
	;; [unrolled: 1-line block ×4, first 2 shown]
	s_movk_i32 s2, 0x3aee
	s_mov_b32 s3, 0xbaee
	s_waitcnt lgkmcnt(1)
	v_lshrrev_b32_e32 v42, 16, v29
	s_waitcnt lgkmcnt(0)
	v_lshrrev_b32_e32 v43, 16, v6
	s_waitcnt vmcnt(0)
	s_barrier
	v_mul_f16_sdwa v50, v33, v44 dst_sel:DWORD dst_unused:UNUSED_PAD src0_sel:WORD_1 src1_sel:DWORD
	v_mul_f16_sdwa v51, v33, v17 dst_sel:DWORD dst_unused:UNUSED_PAD src0_sel:WORD_1 src1_sel:DWORD
	;; [unrolled: 1-line block ×4, first 2 shown]
	v_fma_f16 v17, v33, v17, -v50
	v_fma_f16 v33, v33, v44, v51
	v_fma_f16 v14, v34, v14, -v52
	v_fma_f16 v34, v34, v45, v53
	v_mul_f16_sdwa v44, v35, v46 dst_sel:DWORD dst_unused:UNUSED_PAD src0_sel:WORD_1 src1_sel:DWORD
	v_mul_f16_sdwa v45, v35, v18 dst_sel:DWORD dst_unused:UNUSED_PAD src0_sel:WORD_1 src1_sel:DWORD
	;; [unrolled: 1-line block ×4, first 2 shown]
	v_mul_f16_sdwa v58, v27, v38 dst_sel:DWORD dst_unused:UNUSED_PAD src0_sel:DWORD src1_sel:WORD_1
	v_mul_f16_sdwa v59, v25, v38 dst_sel:DWORD dst_unused:UNUSED_PAD src0_sel:DWORD src1_sel:WORD_1
	v_fma_f16 v18, v35, v18, -v44
	v_sub_f16_e32 v61, v33, v34
	v_fma_f16 v35, v35, v46, v45
	v_add_f16_e32 v45, v32, v33
	v_add_f16_e32 v33, v33, v34
	v_fma_f16 v15, v36, v15, -v50
	v_mul_f16_sdwa v56, v28, v37 dst_sel:DWORD dst_unused:UNUSED_PAD src0_sel:DWORD src1_sel:WORD_1
	v_mul_f16_sdwa v57, v26, v37 dst_sel:DWORD dst_unused:UNUSED_PAD src0_sel:DWORD src1_sel:WORD_1
	v_add_f16_e32 v60, v30, v17
	v_add_f16_e32 v44, v17, v14
	v_sub_f16_e32 v17, v17, v14
	v_fma_f16 v36, v36, v47, v51
	v_fma_f16 v25, v25, v38, -v58
	v_fma_f16 v27, v27, v38, v59
	v_fma_f16 v32, v33, -0.5, v32
	v_add_f16_e32 v38, v18, v15
	v_mul_f16_sdwa v52, v23, v48 dst_sel:DWORD dst_unused:UNUSED_PAD src0_sel:WORD_1 src1_sel:DWORD
	v_mul_f16_sdwa v54, v24, v49 dst_sel:DWORD dst_unused:UNUSED_PAD src0_sel:WORD_1 src1_sel:DWORD
	v_fma_f16 v26, v26, v37, -v56
	v_fma_f16 v28, v28, v37, v57
	v_fma_f16 v37, v17, s3, v32
	;; [unrolled: 1-line block ×3, first 2 shown]
	v_add_f16_e32 v32, v29, v18
	v_fma_f16 v29, v38, -0.5, v29
	v_sub_f16_e32 v38, v35, v36
	v_mul_f16_sdwa v53, v23, v13 dst_sel:DWORD dst_unused:UNUSED_PAD src0_sel:WORD_1 src1_sel:DWORD
	v_mul_f16_sdwa v55, v24, v16 dst_sel:DWORD dst_unused:UNUSED_PAD src0_sel:WORD_1 src1_sel:DWORD
	v_fma_f16 v13, v23, v13, -v52
	v_fma_f16 v16, v24, v16, -v54
	v_fma_f16 v30, v44, -0.5, v30
	v_fma_f16 v44, v38, s2, v29
	v_fma_f16 v29, v38, s3, v29
	v_add_f16_e32 v38, v42, v35
	v_add_f16_e32 v35, v35, v36
	v_fma_f16 v23, v23, v48, v53
	v_fma_f16 v24, v24, v49, v55
	v_add_f16_e32 v32, v32, v15
	v_add_f16_e32 v38, v38, v36
	v_fma_f16 v35, v35, -0.5, v42
	v_sub_f16_e32 v15, v18, v15
	v_add_f16_e32 v36, v13, v16
	v_fma_f16 v18, v15, s3, v35
	v_fma_f16 v15, v15, s2, v35
	v_add_f16_e32 v35, v6, v13
	v_fma_f16 v6, v36, -0.5, v6
	v_sub_f16_e32 v36, v23, v24
	v_fma_f16 v42, v36, s2, v6
	v_fma_f16 v36, v36, s3, v6
	v_add_f16_e32 v6, v43, v23
	v_add_f16_e32 v34, v45, v34
	;; [unrolled: 1-line block ×4, first 2 shown]
	v_fma_f16 v6, v6, -0.5, v43
	v_sub_f16_e32 v13, v13, v16
	v_add_f16_e32 v23, v26, v25
	v_add_f16_e32 v35, v35, v16
	v_fma_f16 v16, v13, s3, v6
	v_fma_f16 v13, v13, s2, v6
	v_add_f16_e32 v6, v22, v26
	v_fma_f16 v22, v23, -0.5, v22
	v_sub_f16_e32 v23, v28, v27
	v_fma_f16 v24, v23, s2, v22
	v_fma_f16 v23, v23, s3, v22
	v_add_f16_e32 v22, v8, v28
	v_add_f16_e32 v22, v22, v27
	;; [unrolled: 1-line block ×4, first 2 shown]
	v_fma_f16 v33, v61, s2, v30
	v_fma_f16 v8, v27, -0.5, v8
	v_sub_f16_e32 v26, v26, v25
	v_fma_f16 v30, v61, s3, v30
	v_add_f16_e32 v6, v6, v25
	v_fma_f16 v25, v26, s3, v8
	v_fma_f16 v8, v26, s2, v8
	v_pack_b32_f16 v14, v14, v34
	v_pack_b32_f16 v26, v33, v37
	ds_write2_b32 v0, v14, v26 offset1:150
	v_pack_b32_f16 v14, v30, v17
	ds_write_b32 v0, v14 offset:1200
	v_mov_b32_e32 v14, 0x708
	v_cmp_lt_u32_e64 s[2:3], 14, v5
	v_cndmask_b32_e64 v14, 0, v14, s[2:3]
	v_lshlrev_b32_e32 v17, 2, v39
	v_add3_u32 v14, 0, v14, v17
	v_pack_b32_f16 v17, v32, v38
	v_pack_b32_f16 v18, v44, v18
	;; [unrolled: 1-line block ×3, first 2 shown]
	ds_write2_b32 v14, v17, v18 offset1:150
	ds_write_b32 v14, v15 offset:1200
	v_mul_u32_u24_e32 v14, 0x708, v40
	v_lshlrev_b32_e32 v15, 2, v41
	v_add3_u32 v14, 0, v14, v15
	v_pack_b32_f16 v15, v35, v45
	v_pack_b32_f16 v16, v42, v16
	;; [unrolled: 1-line block ×3, first 2 shown]
	ds_write2_b32 v14, v15, v16 offset1:150
	ds_write_b32 v14, v13 offset:1200
	s_and_saveexec_b64 s[2:3], vcc
	s_cbranch_execz .LBB0_21
; %bb.20:
	v_lshl_add_u32 v13, v31, 2, 0
	s_mov_b32 s6, 0x5040100
	v_perm_b32 v14, v22, v6, s6
	v_perm_b32 v15, v25, v24, s6
	v_add_u32_e32 v16, 0xe00, v13
	ds_write2_b32 v16, v14, v15 offset0:4 offset1:154
	v_perm_b32 v14, v8, v23, s6
	ds_write_b32 v13, v14 offset:4800
.LBB0_21:
	s_or_b64 exec, exec, s[2:3]
	v_add_u32_e32 v13, 0x600, v0
	s_waitcnt lgkmcnt(0)
	s_barrier
	ds_read2_b32 v[17:18], v13 offset0:66 offset1:201
	v_add_u32_e32 v13, 0xb00, v0
	v_add_u32_e32 v15, 0x1000, v0
	ds_read_b32 v28, v0
	ds_read2_b32 v[13:14], v13 offset0:16 offset1:196
	ds_read2_b32 v[15:16], v15 offset0:11 offset1:146
	ds_read_b32 v27, v21
	ds_read_b32 v26, v20
	s_and_saveexec_b64 s[2:3], vcc
	s_cbranch_execz .LBB0_23
; %bb.22:
	ds_read_b32 v6, v19
	ds_read_b32 v23, v0 offset:5220
	ds_read_b32 v24, v0 offset:3420
	s_waitcnt lgkmcnt(2)
	v_lshrrev_b32_e32 v22, 16, v6
	s_waitcnt lgkmcnt(1)
	v_lshrrev_b32_e32 v8, 16, v23
	;; [unrolled: 2-line block ×3, first 2 shown]
.LBB0_23:
	s_or_b64 exec, exec, s[2:3]
	global_load_dwordx2 v[29:30], v[11:12], off offset:1780
	v_lshlrev_b32_e32 v11, 1, v7
	v_mov_b32_e32 v12, 0
	v_lshlrev_b64 v[31:32], 2, v[11:12]
	v_lshlrev_b32_e32 v11, 1, v10
	v_mov_b32_e32 v35, s13
	v_add_co_u32_e64 v31, s[2:3], s12, v31
	v_lshlrev_b64 v[33:34], 2, v[11:12]
	v_addc_co_u32_e64 v32, s[2:3], v35, v32, s[2:3]
	v_add_co_u32_e64 v33, s[2:3], s12, v33
	global_load_dwordx2 v[31:32], v[31:32], off offset:1780
	v_addc_co_u32_e64 v34, s[2:3], v35, v34, s[2:3]
	global_load_dwordx2 v[33:34], v[33:34], off offset:1780
	s_waitcnt lgkmcnt(3)
	v_lshrrev_b32_e32 v41, 16, v14
	v_lshrrev_b32_e32 v42, 16, v17
	;; [unrolled: 1-line block ×3, first 2 shown]
	s_waitcnt lgkmcnt(2)
	v_lshrrev_b32_e32 v39, 16, v15
	v_lshrrev_b32_e32 v40, 16, v18
	;; [unrolled: 1-line block ×4, first 2 shown]
	s_movk_i32 s6, 0x3aee
	s_mov_b32 s7, 0xbaee
	s_waitcnt lgkmcnt(1)
	v_lshrrev_b32_e32 v35, 16, v27
	s_waitcnt lgkmcnt(0)
	v_lshrrev_b32_e32 v36, 16, v26
	s_waitcnt vmcnt(0)
	s_barrier
	v_mul_f16_sdwa v43, v29, v42 dst_sel:DWORD dst_unused:UNUSED_PAD src0_sel:WORD_1 src1_sel:DWORD
	v_mul_f16_sdwa v44, v29, v17 dst_sel:DWORD dst_unused:UNUSED_PAD src0_sel:WORD_1 src1_sel:DWORD
	;; [unrolled: 1-line block ×4, first 2 shown]
	v_fma_f16 v17, v29, v17, -v43
	v_fma_f16 v29, v29, v42, v44
	v_fma_f16 v14, v30, v14, -v45
	v_fma_f16 v30, v30, v41, v46
	v_add_f16_e32 v41, v28, v17
	v_add_f16_e32 v42, v17, v14
	v_sub_f16_e32 v43, v29, v30
	v_add_f16_e32 v44, v11, v29
	v_add_f16_e32 v29, v29, v30
	v_sub_f16_e32 v17, v17, v14
	v_add_f16_e32 v14, v41, v14
	v_fma_f16 v28, v42, -0.5, v28
	v_add_f16_e32 v30, v44, v30
	v_fma_f16 v11, v29, -0.5, v11
	v_mul_f16_sdwa v29, v31, v40 dst_sel:DWORD dst_unused:UNUSED_PAD src0_sel:WORD_1 src1_sel:DWORD
	v_mul_f16_sdwa v41, v31, v18 dst_sel:DWORD dst_unused:UNUSED_PAD src0_sel:WORD_1 src1_sel:DWORD
	;; [unrolled: 1-line block ×4, first 2 shown]
	v_fma_f16 v45, v43, s6, v28
	v_fma_f16 v28, v43, s7, v28
	;; [unrolled: 1-line block ×4, first 2 shown]
	v_fma_f16 v17, v31, v18, -v29
	v_fma_f16 v18, v31, v40, v41
	v_fma_f16 v15, v32, v15, -v42
	v_fma_f16 v29, v32, v39, v44
	v_mul_f16_sdwa v31, v33, v38 dst_sel:DWORD dst_unused:UNUSED_PAD src0_sel:WORD_1 src1_sel:DWORD
	v_mul_f16_sdwa v32, v33, v13 dst_sel:DWORD dst_unused:UNUSED_PAD src0_sel:WORD_1 src1_sel:DWORD
	;; [unrolled: 1-line block ×4, first 2 shown]
	v_fma_f16 v13, v33, v13, -v31
	v_fma_f16 v31, v33, v38, v32
	v_fma_f16 v16, v34, v16, -v39
	v_fma_f16 v32, v34, v37, v40
	v_add_f16_e32 v33, v27, v17
	v_add_f16_e32 v34, v17, v15
	v_sub_f16_e32 v37, v18, v29
	v_add_f16_e32 v38, v35, v18
	v_add_f16_e32 v18, v18, v29
	v_sub_f16_e32 v17, v17, v15
	v_add_f16_e32 v15, v33, v15
	v_fma_f16 v27, v34, -0.5, v27
	v_add_f16_e32 v29, v38, v29
	v_fma_f16 v18, v18, -0.5, v35
	v_pack_b32_f16 v14, v14, v30
	v_pack_b32_f16 v11, v28, v11
	v_fma_f16 v39, v37, s6, v27
	v_fma_f16 v27, v37, s7, v27
	;; [unrolled: 1-line block ×3, first 2 shown]
	ds_write_b32 v0, v14
	v_pack_b32_f16 v14, v45, v43
	ds_write_b32 v0, v11 offset:3600
	v_pack_b32_f16 v11, v15, v29
	v_add_f16_e32 v33, v26, v13
	v_add_f16_e32 v34, v13, v16
	v_sub_f16_e32 v35, v31, v32
	v_add_f16_e32 v38, v36, v31
	v_add_f16_e32 v31, v31, v32
	v_fma_f16 v17, v17, s6, v18
	ds_write_b32 v0, v14 offset:1800
	ds_write_b32 v21, v11
	v_pack_b32_f16 v11, v39, v37
	v_add_f16_e32 v18, v33, v16
	v_fma_f16 v26, v34, -0.5, v26
	v_add_f16_e32 v32, v38, v32
	v_fma_f16 v31, v31, -0.5, v36
	v_sub_f16_e32 v13, v13, v16
	ds_write_b32 v21, v11 offset:1800
	v_pack_b32_f16 v11, v27, v17
	v_fma_f16 v33, v35, s6, v26
	v_fma_f16 v16, v13, s7, v31
	ds_write_b32 v21, v11 offset:3600
	v_pack_b32_f16 v11, v18, v32
	v_fma_f16 v26, v35, s7, v26
	v_fma_f16 v13, v13, s6, v31
	ds_write_b32 v20, v11
	v_pack_b32_f16 v11, v33, v16
	ds_write_b32 v20, v11 offset:1800
	v_pack_b32_f16 v11, v26, v13
	ds_write_b32 v20, v11 offset:3600
	s_and_saveexec_b64 s[2:3], vcc
	s_cbranch_execz .LBB0_25
; %bb.24:
	v_subrev_u32_e32 v11, 45, v5
	v_cndmask_b32_e32 v11, v11, v9, vcc
	v_lshlrev_b32_e32 v11, 1, v11
	v_lshlrev_b64 v[11:12], 2, v[11:12]
	v_mov_b32_e32 v13, s13
	v_add_co_u32_e32 v11, vcc, s12, v11
	v_addc_co_u32_e32 v12, vcc, v13, v12, vcc
	global_load_dwordx2 v[11:12], v[11:12], off offset:1780
	s_waitcnt vmcnt(0)
	v_mul_f16_sdwa v13, v25, v11 dst_sel:DWORD dst_unused:UNUSED_PAD src0_sel:DWORD src1_sel:WORD_1
	v_mul_f16_sdwa v14, v8, v12 dst_sel:DWORD dst_unused:UNUSED_PAD src0_sel:DWORD src1_sel:WORD_1
	;; [unrolled: 1-line block ×4, first 2 shown]
	v_fma_f16 v13, v24, v11, -v13
	v_fma_f16 v14, v23, v12, -v14
	v_fma_f16 v11, v25, v11, v15
	v_fma_f16 v8, v8, v12, v16
	v_add_f16_e32 v15, v11, v8
	v_add_f16_e32 v17, v13, v14
	v_sub_f16_e32 v12, v13, v14
	v_add_f16_e32 v16, v22, v11
	v_sub_f16_e32 v11, v11, v8
	v_add_f16_e32 v13, v6, v13
	v_fma_f16 v15, v15, -0.5, v22
	v_fma_f16 v6, v17, -0.5, v6
	v_add_f16_e32 v8, v16, v8
	v_add_f16_e32 v13, v13, v14
	v_fma_f16 v14, v12, s6, v15
	v_fma_f16 v12, v12, s7, v15
	;; [unrolled: 1-line block ×4, first 2 shown]
	v_pack_b32_f16 v8, v13, v8
	v_pack_b32_f16 v6, v6, v12
	ds_write_b32 v0, v8 offset:1620
	v_pack_b32_f16 v8, v15, v14
	ds_write_b32 v0, v6 offset:3420
	ds_write_b32 v0, v8 offset:5220
.LBB0_25:
	s_or_b64 exec, exec, s[2:3]
	s_waitcnt lgkmcnt(0)
	s_barrier
	ds_read_b32 v8, v0
	s_add_u32 s6, s12, 0x1504
	v_lshlrev_b32_e32 v6, 2, v5
	s_addc_u32 s7, s13, 0
	v_sub_u32_e32 v14, 0, v6
	v_cmp_ne_u32_e32 vcc, 0, v5
                                        ; implicit-def: $vgpr17
                                        ; implicit-def: $vgpr15
                                        ; implicit-def: $vgpr16
                                        ; implicit-def: $vgpr12_vgpr13
	s_and_saveexec_b64 s[2:3], vcc
	s_xor_b64 s[2:3], exec, s[2:3]
	s_cbranch_execz .LBB0_27
; %bb.26:
	v_mov_b32_e32 v6, 0
	v_lshlrev_b64 v[11:12], 2, v[5:6]
	v_mov_b32_e32 v13, s7
	v_add_co_u32_e32 v11, vcc, s6, v11
	v_addc_co_u32_e32 v12, vcc, v13, v12, vcc
	global_load_dword v11, v[11:12], off
	ds_read_b32 v12, v14 offset:5400
	s_mov_b32 s8, 0xffff
	s_waitcnt lgkmcnt(0)
	v_pk_add_f16 v13, v8, v12 neg_lo:[0,1] neg_hi:[0,1]
	v_pk_add_f16 v8, v12, v8
	v_bfi_b32 v12, s8, v13, v8
	v_bfi_b32 v8, s8, v8, v13
	v_pk_mul_f16 v12, v12, 0.5 op_sel_hi:[1,0]
	v_pk_mul_f16 v13, v8, 0.5 op_sel_hi:[1,0]
	s_waitcnt vmcnt(0)
	v_pk_mul_f16 v15, v11, v12 op_sel:[1,0]
	v_pk_mul_f16 v11, v11, v12 op_sel_hi:[0,1]
	v_pk_fma_f16 v8, v8, 0.5, v15 op_sel_hi:[1,0,1]
	v_sub_f16_e32 v12, v13, v15
	v_sub_f16_sdwa v13, v15, v13 dst_sel:DWORD dst_unused:UNUSED_PAD src0_sel:WORD_1 src1_sel:WORD_1
	v_pk_add_f16 v17, v8, v11 op_sel:[0,1] op_sel_hi:[1,0]
	v_pk_add_f16 v8, v8, v11 op_sel:[0,1] op_sel_hi:[1,0] neg_lo:[0,1] neg_hi:[0,1]
	v_sub_f16_sdwa v15, v12, v11 dst_sel:DWORD dst_unused:UNUSED_PAD src0_sel:DWORD src1_sel:WORD_1
	v_sub_f16_e32 v16, v13, v11
	v_mov_b32_e32 v13, v6
	v_bfi_b32 v17, s8, v17, v8
	v_mov_b32_e32 v12, v5
                                        ; implicit-def: $vgpr8
.LBB0_27:
	s_andn2_saveexec_b64 s[2:3], s[2:3]
	s_cbranch_execz .LBB0_29
; %bb.28:
	v_mov_b32_e32 v16, 0
	ds_read_u16 v6, v16 offset:2702
	s_waitcnt lgkmcnt(1)
	v_alignbit_b32 v11, s0, v8, 16
	v_sub_f16_sdwa v15, v8, v8 dst_sel:DWORD dst_unused:UNUSED_PAD src0_sel:DWORD src1_sel:WORD_1
	v_mov_b32_e32 v12, 0
	v_pk_add_f16 v8, v11, v8
	v_mov_b32_e32 v13, 0
	s_waitcnt lgkmcnt(0)
	v_xor_b32_e32 v6, 0x8000, v6
	v_pack_b32_f16 v17, v8, 0
	ds_write_b16 v16, v6 offset:2702
.LBB0_29:
	s_or_b64 exec, exec, s[2:3]
	s_waitcnt lgkmcnt(0)
	v_mov_b32_e32 v8, 0
	v_lshlrev_b64 v[6:7], 2, v[7:8]
	v_mov_b32_e32 v11, s7
	v_add_co_u32_e32 v6, vcc, s6, v6
	v_addc_co_u32_e32 v7, vcc, v11, v7, vcc
	global_load_dword v18, v[6:7], off
	v_mov_b32_e32 v11, v8
	v_lshlrev_b64 v[6:7], 2, v[10:11]
	v_mov_b32_e32 v22, s7
	v_add_co_u32_e32 v6, vcc, s6, v6
	v_addc_co_u32_e32 v7, vcc, v22, v7, vcc
	global_load_dword v11, v[6:7], off
	;; [unrolled: 6-line block ×3, first 2 shown]
	v_lshlrev_b64 v[6:7], 2, v[12:13]
	ds_write_b16 v14, v16 offset:5402
	ds_write_b32 v0, v17
	ds_write_b16 v14, v15 offset:5400
	v_add_co_u32_e32 v6, vcc, s6, v6
	v_addc_co_u32_e32 v7, vcc, v10, v7, vcc
	ds_read_b32 v12, v21
	ds_read_b32 v13, v14 offset:4860
	global_load_dword v6, v[6:7], off offset:2160
	s_mov_b32 s2, 0xffff
	s_waitcnt lgkmcnt(0)
	v_pk_add_f16 v7, v12, v13 neg_lo:[0,1] neg_hi:[0,1]
	v_pk_add_f16 v10, v12, v13
	v_bfi_b32 v12, s2, v7, v10
	v_bfi_b32 v7, s2, v10, v7
	v_pk_mul_f16 v10, v12, 0.5 op_sel_hi:[1,0]
	v_pk_mul_f16 v7, v7, 0.5 op_sel_hi:[1,0]
	s_waitcnt vmcnt(3)
	v_pk_fma_f16 v12, v18, v10, v7 op_sel:[1,0,0]
	v_pk_mul_f16 v13, v18, v10 op_sel_hi:[0,1]
	v_pk_fma_f16 v15, v18, v10, v7 op_sel:[1,0,0] neg_lo:[1,0,0] neg_hi:[1,0,0]
	v_pk_fma_f16 v7, v18, v10, v7 op_sel:[1,0,0] neg_lo:[0,0,1] neg_hi:[0,0,1]
	v_pk_add_f16 v10, v12, v13 op_sel:[0,1] op_sel_hi:[1,0]
	v_pk_add_f16 v12, v12, v13 op_sel:[0,1] op_sel_hi:[1,0] neg_lo:[0,1] neg_hi:[0,1]
	v_pk_add_f16 v15, v15, v13 op_sel:[0,1] op_sel_hi:[1,0] neg_lo:[0,1] neg_hi:[0,1]
	;; [unrolled: 1-line block ×3, first 2 shown]
	v_bfi_b32 v10, s2, v10, v12
	v_bfi_b32 v7, s2, v15, v7
	ds_write_b32 v21, v10
	ds_write_b32 v14, v7 offset:4860
	ds_read_b32 v7, v20
	ds_read_b32 v10, v14 offset:4320
	s_waitcnt lgkmcnt(0)
	v_pk_add_f16 v12, v7, v10 neg_lo:[0,1] neg_hi:[0,1]
	v_pk_add_f16 v7, v7, v10
	v_bfi_b32 v10, s2, v12, v7
	v_bfi_b32 v7, s2, v7, v12
	v_pk_mul_f16 v10, v10, 0.5 op_sel_hi:[1,0]
	v_pk_mul_f16 v7, v7, 0.5 op_sel_hi:[1,0]
	s_waitcnt vmcnt(2)
	v_pk_fma_f16 v12, v11, v10, v7 op_sel:[1,0,0]
	v_pk_mul_f16 v13, v11, v10 op_sel_hi:[0,1]
	v_pk_fma_f16 v15, v11, v10, v7 op_sel:[1,0,0] neg_lo:[1,0,0] neg_hi:[1,0,0]
	v_pk_fma_f16 v7, v11, v10, v7 op_sel:[1,0,0] neg_lo:[0,0,1] neg_hi:[0,0,1]
	v_pk_add_f16 v10, v12, v13 op_sel:[0,1] op_sel_hi:[1,0]
	v_pk_add_f16 v11, v12, v13 op_sel:[0,1] op_sel_hi:[1,0] neg_lo:[0,1] neg_hi:[0,1]
	v_pk_add_f16 v12, v15, v13 op_sel:[0,1] op_sel_hi:[1,0] neg_lo:[0,1] neg_hi:[0,1]
	;; [unrolled: 1-line block ×3, first 2 shown]
	v_bfi_b32 v10, s2, v10, v11
	v_bfi_b32 v7, s2, v12, v7
	ds_write_b32 v20, v10
	ds_write_b32 v14, v7 offset:4320
	ds_read_b32 v7, v19
	ds_read_b32 v10, v14 offset:3780
	s_waitcnt lgkmcnt(0)
	v_pk_add_f16 v11, v7, v10 neg_lo:[0,1] neg_hi:[0,1]
	v_pk_add_f16 v7, v7, v10
	v_bfi_b32 v10, s2, v11, v7
	v_bfi_b32 v7, s2, v7, v11
	v_pk_mul_f16 v10, v10, 0.5 op_sel_hi:[1,0]
	v_pk_mul_f16 v7, v7, 0.5 op_sel_hi:[1,0]
	s_waitcnt vmcnt(1)
	v_pk_fma_f16 v11, v9, v10, v7 op_sel:[1,0,0]
	v_pk_mul_f16 v12, v9, v10 op_sel_hi:[0,1]
	v_pk_fma_f16 v13, v9, v10, v7 op_sel:[1,0,0] neg_lo:[1,0,0] neg_hi:[1,0,0]
	v_pk_fma_f16 v7, v9, v10, v7 op_sel:[1,0,0] neg_lo:[0,0,1] neg_hi:[0,0,1]
	v_pk_add_f16 v9, v11, v12 op_sel:[0,1] op_sel_hi:[1,0]
	v_pk_add_f16 v10, v11, v12 op_sel:[0,1] op_sel_hi:[1,0] neg_lo:[0,1] neg_hi:[0,1]
	v_pk_add_f16 v11, v13, v12 op_sel:[0,1] op_sel_hi:[1,0] neg_lo:[0,1] neg_hi:[0,1]
	;; [unrolled: 1-line block ×3, first 2 shown]
	v_bfi_b32 v9, s2, v9, v10
	v_bfi_b32 v7, s2, v11, v7
	ds_write_b32 v19, v9
	ds_write_b32 v14, v7 offset:3780
	ds_read_b32 v7, v0 offset:2160
	ds_read_b32 v9, v14 offset:3240
	s_waitcnt lgkmcnt(0)
	v_pk_add_f16 v10, v7, v9 neg_lo:[0,1] neg_hi:[0,1]
	v_pk_add_f16 v7, v7, v9
	v_bfi_b32 v9, s2, v10, v7
	v_bfi_b32 v7, s2, v7, v10
	v_pk_mul_f16 v9, v9, 0.5 op_sel_hi:[1,0]
	v_pk_mul_f16 v7, v7, 0.5 op_sel_hi:[1,0]
	s_waitcnt vmcnt(0)
	v_pk_fma_f16 v10, v6, v9, v7 op_sel:[1,0,0]
	v_pk_mul_f16 v11, v6, v9 op_sel_hi:[0,1]
	v_pk_fma_f16 v12, v6, v9, v7 op_sel:[1,0,0] neg_lo:[1,0,0] neg_hi:[1,0,0]
	v_pk_fma_f16 v6, v6, v9, v7 op_sel:[1,0,0] neg_lo:[0,0,1] neg_hi:[0,0,1]
	v_pk_add_f16 v7, v10, v11 op_sel:[0,1] op_sel_hi:[1,0]
	v_pk_add_f16 v9, v10, v11 op_sel:[0,1] op_sel_hi:[1,0] neg_lo:[0,1] neg_hi:[0,1]
	v_pk_add_f16 v10, v12, v11 op_sel:[0,1] op_sel_hi:[1,0] neg_lo:[0,1] neg_hi:[0,1]
	v_pk_add_f16 v6, v6, v11 op_sel:[0,1] op_sel_hi:[1,0] neg_lo:[0,1] neg_hi:[0,1]
	v_bfi_b32 v7, s2, v7, v9
	v_bfi_b32 v6, s2, v10, v6
	ds_write_b32 v0, v7 offset:2160
	ds_write_b32 v14, v6 offset:3240
	s_waitcnt lgkmcnt(0)
	s_barrier
	s_and_saveexec_b64 s[2:3], s[0:1]
	s_cbranch_execz .LBB0_32
; %bb.30:
	v_mul_lo_u32 v0, s5, v3
	v_mul_lo_u32 v6, s4, v4
	v_mad_u64_u32 v[3:4], s[0:1], s4, v3, 0
	v_lshlrev_b64 v[1:2], 2, v[1:2]
	v_lshl_add_u32 v11, v5, 2, 0
	v_add3_u32 v4, v4, v6, v0
	v_lshlrev_b64 v[3:4], 2, v[3:4]
	v_mov_b32_e32 v0, s11
	v_add_co_u32_e32 v3, vcc, s10, v3
	v_addc_co_u32_e32 v0, vcc, v0, v4, vcc
	v_mov_b32_e32 v6, v8
	ds_read2_b32 v[9:10], v11 offset1:135
	v_add_co_u32_e32 v1, vcc, v3, v1
	v_addc_co_u32_e32 v0, vcc, v0, v2, vcc
	v_lshlrev_b64 v[2:3], 2, v[5:6]
	v_add_u32_e32 v7, 0x87, v5
	v_add_co_u32_e32 v2, vcc, v1, v2
	v_addc_co_u32_e32 v3, vcc, v0, v3, vcc
	s_waitcnt lgkmcnt(0)
	global_store_dword v[2:3], v9, off
	v_lshlrev_b64 v[2:3], 2, v[7:8]
	v_add_u32_e32 v7, 0x10e, v5
	v_add_co_u32_e32 v2, vcc, v1, v2
	v_addc_co_u32_e32 v3, vcc, v0, v3, vcc
	global_store_dword v[2:3], v10, off
	v_add_u32_e32 v2, 0x400, v11
	ds_read2_b32 v[2:3], v2 offset0:14 offset1:149
	v_lshlrev_b64 v[6:7], 2, v[7:8]
	s_movk_i32 s0, 0x86
	v_add_co_u32_e32 v6, vcc, v1, v6
	v_addc_co_u32_e32 v7, vcc, v0, v7, vcc
	s_waitcnt lgkmcnt(0)
	global_store_dword v[6:7], v2, off
	v_add_u32_e32 v7, 0x195, v5
	v_lshlrev_b64 v[6:7], 2, v[7:8]
	v_add_u32_e32 v2, 0x800, v11
	v_add_co_u32_e32 v6, vcc, v1, v6
	v_addc_co_u32_e32 v7, vcc, v0, v7, vcc
	global_store_dword v[6:7], v3, off
	v_add_u32_e32 v7, 0x21c, v5
	ds_read2_b32 v[2:3], v2 offset0:28 offset1:163
	v_lshlrev_b64 v[6:7], 2, v[7:8]
	v_add_co_u32_e32 v6, vcc, v1, v6
	v_addc_co_u32_e32 v7, vcc, v0, v7, vcc
	s_waitcnt lgkmcnt(0)
	global_store_dword v[6:7], v2, off
	v_add_u32_e32 v7, 0x2a3, v5
	v_lshlrev_b64 v[6:7], 2, v[7:8]
	v_add_u32_e32 v2, 0xc00, v11
	v_add_co_u32_e32 v6, vcc, v1, v6
	v_addc_co_u32_e32 v7, vcc, v0, v7, vcc
	global_store_dword v[6:7], v3, off
	v_add_u32_e32 v7, 0x32a, v5
	ds_read2_b32 v[2:3], v2 offset0:42 offset1:177
	v_lshlrev_b64 v[6:7], 2, v[7:8]
	;; [unrolled: 13-line block ×3, first 2 shown]
	v_add_co_u32_e32 v6, vcc, v1, v6
	v_addc_co_u32_e32 v7, vcc, v0, v7, vcc
	s_waitcnt lgkmcnt(0)
	global_store_dword v[6:7], v2, off
	v_add_u32_e32 v7, 0x4bf, v5
	v_lshlrev_b64 v[6:7], 2, v[7:8]
	v_add_co_u32_e32 v6, vcc, v1, v6
	v_addc_co_u32_e32 v7, vcc, v0, v7, vcc
	v_cmp_eq_u32_e32 vcc, s0, v5
	global_store_dword v[6:7], v3, off
	s_and_b64 exec, exec, vcc
	s_cbranch_execz .LBB0_32
; %bb.31:
	v_mov_b32_e32 v2, 0
	ds_read_b32 v3, v2 offset:5400
	v_add_co_u32_e32 v1, vcc, 0x1000, v1
	v_addc_co_u32_e32 v2, vcc, 0, v0, vcc
	s_waitcnt lgkmcnt(0)
	global_store_dword v[1:2], v3, off offset:1304
.LBB0_32:
	s_endpgm
	.section	.rodata,"a",@progbits
	.p2align	6, 0x0
	.amdhsa_kernel fft_rtc_fwd_len1350_factors_5_10_3_3_3_wgs_135_tpt_135_halfLds_half_op_CI_CI_unitstride_sbrr_R2C_dirReg
		.amdhsa_group_segment_fixed_size 0
		.amdhsa_private_segment_fixed_size 0
		.amdhsa_kernarg_size 104
		.amdhsa_user_sgpr_count 6
		.amdhsa_user_sgpr_private_segment_buffer 1
		.amdhsa_user_sgpr_dispatch_ptr 0
		.amdhsa_user_sgpr_queue_ptr 0
		.amdhsa_user_sgpr_kernarg_segment_ptr 1
		.amdhsa_user_sgpr_dispatch_id 0
		.amdhsa_user_sgpr_flat_scratch_init 0
		.amdhsa_user_sgpr_private_segment_size 0
		.amdhsa_uses_dynamic_stack 0
		.amdhsa_system_sgpr_private_segment_wavefront_offset 0
		.amdhsa_system_sgpr_workgroup_id_x 1
		.amdhsa_system_sgpr_workgroup_id_y 0
		.amdhsa_system_sgpr_workgroup_id_z 0
		.amdhsa_system_sgpr_workgroup_info 0
		.amdhsa_system_vgpr_workitem_id 0
		.amdhsa_next_free_vgpr 62
		.amdhsa_next_free_sgpr 28
		.amdhsa_reserve_vcc 1
		.amdhsa_reserve_flat_scratch 0
		.amdhsa_float_round_mode_32 0
		.amdhsa_float_round_mode_16_64 0
		.amdhsa_float_denorm_mode_32 3
		.amdhsa_float_denorm_mode_16_64 3
		.amdhsa_dx10_clamp 1
		.amdhsa_ieee_mode 1
		.amdhsa_fp16_overflow 0
		.amdhsa_exception_fp_ieee_invalid_op 0
		.amdhsa_exception_fp_denorm_src 0
		.amdhsa_exception_fp_ieee_div_zero 0
		.amdhsa_exception_fp_ieee_overflow 0
		.amdhsa_exception_fp_ieee_underflow 0
		.amdhsa_exception_fp_ieee_inexact 0
		.amdhsa_exception_int_div_zero 0
	.end_amdhsa_kernel
	.text
.Lfunc_end0:
	.size	fft_rtc_fwd_len1350_factors_5_10_3_3_3_wgs_135_tpt_135_halfLds_half_op_CI_CI_unitstride_sbrr_R2C_dirReg, .Lfunc_end0-fft_rtc_fwd_len1350_factors_5_10_3_3_3_wgs_135_tpt_135_halfLds_half_op_CI_CI_unitstride_sbrr_R2C_dirReg
                                        ; -- End function
	.section	.AMDGPU.csdata,"",@progbits
; Kernel info:
; codeLenInByte = 9092
; NumSgprs: 32
; NumVgprs: 62
; ScratchSize: 0
; MemoryBound: 0
; FloatMode: 240
; IeeeMode: 1
; LDSByteSize: 0 bytes/workgroup (compile time only)
; SGPRBlocks: 3
; VGPRBlocks: 15
; NumSGPRsForWavesPerEU: 32
; NumVGPRsForWavesPerEU: 62
; Occupancy: 4
; WaveLimiterHint : 1
; COMPUTE_PGM_RSRC2:SCRATCH_EN: 0
; COMPUTE_PGM_RSRC2:USER_SGPR: 6
; COMPUTE_PGM_RSRC2:TRAP_HANDLER: 0
; COMPUTE_PGM_RSRC2:TGID_X_EN: 1
; COMPUTE_PGM_RSRC2:TGID_Y_EN: 0
; COMPUTE_PGM_RSRC2:TGID_Z_EN: 0
; COMPUTE_PGM_RSRC2:TIDIG_COMP_CNT: 0
	.type	__hip_cuid_9b41583259b2f8dd,@object ; @__hip_cuid_9b41583259b2f8dd
	.section	.bss,"aw",@nobits
	.globl	__hip_cuid_9b41583259b2f8dd
__hip_cuid_9b41583259b2f8dd:
	.byte	0                               ; 0x0
	.size	__hip_cuid_9b41583259b2f8dd, 1

	.ident	"AMD clang version 19.0.0git (https://github.com/RadeonOpenCompute/llvm-project roc-6.4.0 25133 c7fe45cf4b819c5991fe208aaa96edf142730f1d)"
	.section	".note.GNU-stack","",@progbits
	.addrsig
	.addrsig_sym __hip_cuid_9b41583259b2f8dd
	.amdgpu_metadata
---
amdhsa.kernels:
  - .args:
      - .actual_access:  read_only
        .address_space:  global
        .offset:         0
        .size:           8
        .value_kind:     global_buffer
      - .offset:         8
        .size:           8
        .value_kind:     by_value
      - .actual_access:  read_only
        .address_space:  global
        .offset:         16
        .size:           8
        .value_kind:     global_buffer
      - .actual_access:  read_only
        .address_space:  global
        .offset:         24
        .size:           8
        .value_kind:     global_buffer
      - .actual_access:  read_only
        .address_space:  global
        .offset:         32
        .size:           8
        .value_kind:     global_buffer
      - .offset:         40
        .size:           8
        .value_kind:     by_value
      - .actual_access:  read_only
        .address_space:  global
        .offset:         48
        .size:           8
        .value_kind:     global_buffer
      - .actual_access:  read_only
        .address_space:  global
        .offset:         56
        .size:           8
        .value_kind:     global_buffer
      - .offset:         64
        .size:           4
        .value_kind:     by_value
      - .actual_access:  read_only
        .address_space:  global
        .offset:         72
        .size:           8
        .value_kind:     global_buffer
      - .actual_access:  read_only
        .address_space:  global
        .offset:         80
        .size:           8
        .value_kind:     global_buffer
      - .actual_access:  read_only
        .address_space:  global
        .offset:         88
        .size:           8
        .value_kind:     global_buffer
      - .actual_access:  write_only
        .address_space:  global
        .offset:         96
        .size:           8
        .value_kind:     global_buffer
    .group_segment_fixed_size: 0
    .kernarg_segment_align: 8
    .kernarg_segment_size: 104
    .language:       OpenCL C
    .language_version:
      - 2
      - 0
    .max_flat_workgroup_size: 135
    .name:           fft_rtc_fwd_len1350_factors_5_10_3_3_3_wgs_135_tpt_135_halfLds_half_op_CI_CI_unitstride_sbrr_R2C_dirReg
    .private_segment_fixed_size: 0
    .sgpr_count:     32
    .sgpr_spill_count: 0
    .symbol:         fft_rtc_fwd_len1350_factors_5_10_3_3_3_wgs_135_tpt_135_halfLds_half_op_CI_CI_unitstride_sbrr_R2C_dirReg.kd
    .uniform_work_group_size: 1
    .uses_dynamic_stack: false
    .vgpr_count:     62
    .vgpr_spill_count: 0
    .wavefront_size: 64
amdhsa.target:   amdgcn-amd-amdhsa--gfx906
amdhsa.version:
  - 1
  - 2
...

	.end_amdgpu_metadata
